;; amdgpu-corpus repo=ROCm/rocFFT kind=compiled arch=gfx1030 opt=O3
	.text
	.amdgcn_target "amdgcn-amd-amdhsa--gfx1030"
	.amdhsa_code_object_version 6
	.protected	fft_rtc_back_len90_factors_3_3_10_wgs_63_tpt_9_halfLds_sp_ip_CI_sbrr_dirReg ; -- Begin function fft_rtc_back_len90_factors_3_3_10_wgs_63_tpt_9_halfLds_sp_ip_CI_sbrr_dirReg
	.globl	fft_rtc_back_len90_factors_3_3_10_wgs_63_tpt_9_halfLds_sp_ip_CI_sbrr_dirReg
	.p2align	8
	.type	fft_rtc_back_len90_factors_3_3_10_wgs_63_tpt_9_halfLds_sp_ip_CI_sbrr_dirReg,@function
fft_rtc_back_len90_factors_3_3_10_wgs_63_tpt_9_halfLds_sp_ip_CI_sbrr_dirReg: ; @fft_rtc_back_len90_factors_3_3_10_wgs_63_tpt_9_halfLds_sp_ip_CI_sbrr_dirReg
; %bb.0:
	s_clause 0x1
	s_load_dwordx2 s[14:15], s[4:5], 0x18
	s_load_dwordx4 s[8:11], s[4:5], 0x0
	v_mul_u32_u24_e32 v1, 0x1c72, v0
	v_mov_b32_e32 v6, 0
	v_mov_b32_e32 v4, 0
	v_mov_b32_e32 v5, 0
	s_load_dwordx2 s[12:13], s[4:5], 0x50
	s_waitcnt lgkmcnt(0)
	s_load_dwordx2 s[2:3], s[14:15], 0x0
	v_lshrrev_b32_e32 v1, 16, v1
	v_cmp_lt_u64_e64 s0, s[10:11], 2
	v_mad_u64_u32 v[2:3], null, s6, 7, v[1:2]
	v_mov_b32_e32 v3, v6
	s_and_b32 vcc_lo, exec_lo, s0
	v_mov_b32_e32 v11, v3
	v_mov_b32_e32 v10, v2
	s_cbranch_vccnz .LBB0_8
; %bb.1:
	s_load_dwordx2 s[0:1], s[4:5], 0x10
	v_mov_b32_e32 v4, 0
	v_mov_b32_e32 v9, v3
	s_add_u32 s6, s14, 8
	v_mov_b32_e32 v5, 0
	v_mov_b32_e32 v8, v2
	s_addc_u32 s7, s15, 0
	s_mov_b64 s[18:19], 1
	s_waitcnt lgkmcnt(0)
	s_add_u32 s16, s0, 8
	s_addc_u32 s17, s1, 0
.LBB0_2:                                ; =>This Inner Loop Header: Depth=1
	s_load_dwordx2 s[20:21], s[16:17], 0x0
                                        ; implicit-def: $vgpr10_vgpr11
	s_mov_b32 s0, exec_lo
	s_waitcnt lgkmcnt(0)
	v_or_b32_e32 v7, s21, v9
	v_cmpx_ne_u64_e32 0, v[6:7]
	s_xor_b32 s1, exec_lo, s0
	s_cbranch_execz .LBB0_4
; %bb.3:                                ;   in Loop: Header=BB0_2 Depth=1
	v_cvt_f32_u32_e32 v1, s20
	v_cvt_f32_u32_e32 v3, s21
	s_sub_u32 s0, 0, s20
	s_subb_u32 s22, 0, s21
	v_fmac_f32_e32 v1, 0x4f800000, v3
	v_rcp_f32_e32 v1, v1
	v_mul_f32_e32 v1, 0x5f7ffffc, v1
	v_mul_f32_e32 v3, 0x2f800000, v1
	v_trunc_f32_e32 v3, v3
	v_fmac_f32_e32 v1, 0xcf800000, v3
	v_cvt_u32_f32_e32 v3, v3
	v_cvt_u32_f32_e32 v1, v1
	v_mul_lo_u32 v7, s0, v3
	v_mul_hi_u32 v10, s0, v1
	v_mul_lo_u32 v11, s22, v1
	v_add_nc_u32_e32 v7, v10, v7
	v_mul_lo_u32 v10, s0, v1
	v_add_nc_u32_e32 v7, v7, v11
	v_mul_hi_u32 v11, v1, v10
	v_mul_lo_u32 v12, v1, v7
	v_mul_hi_u32 v13, v1, v7
	v_mul_hi_u32 v14, v3, v10
	v_mul_lo_u32 v10, v3, v10
	v_mul_hi_u32 v15, v3, v7
	v_mul_lo_u32 v7, v3, v7
	v_add_co_u32 v11, vcc_lo, v11, v12
	v_add_co_ci_u32_e32 v12, vcc_lo, 0, v13, vcc_lo
	v_add_co_u32 v10, vcc_lo, v11, v10
	v_add_co_ci_u32_e32 v10, vcc_lo, v12, v14, vcc_lo
	v_add_co_ci_u32_e32 v11, vcc_lo, 0, v15, vcc_lo
	v_add_co_u32 v7, vcc_lo, v10, v7
	v_add_co_ci_u32_e32 v10, vcc_lo, 0, v11, vcc_lo
	v_add_co_u32 v1, vcc_lo, v1, v7
	v_add_co_ci_u32_e32 v3, vcc_lo, v3, v10, vcc_lo
	v_mul_hi_u32 v7, s0, v1
	v_mul_lo_u32 v11, s22, v1
	v_mul_lo_u32 v10, s0, v3
	v_add_nc_u32_e32 v7, v7, v10
	v_mul_lo_u32 v10, s0, v1
	v_add_nc_u32_e32 v7, v7, v11
	v_mul_hi_u32 v11, v1, v10
	v_mul_lo_u32 v12, v1, v7
	v_mul_hi_u32 v13, v1, v7
	v_mul_hi_u32 v14, v3, v10
	v_mul_lo_u32 v10, v3, v10
	v_mul_hi_u32 v15, v3, v7
	v_mul_lo_u32 v7, v3, v7
	v_add_co_u32 v11, vcc_lo, v11, v12
	v_add_co_ci_u32_e32 v12, vcc_lo, 0, v13, vcc_lo
	v_add_co_u32 v10, vcc_lo, v11, v10
	v_add_co_ci_u32_e32 v10, vcc_lo, v12, v14, vcc_lo
	v_add_co_ci_u32_e32 v11, vcc_lo, 0, v15, vcc_lo
	v_add_co_u32 v7, vcc_lo, v10, v7
	v_add_co_ci_u32_e32 v10, vcc_lo, 0, v11, vcc_lo
	v_add_co_u32 v1, vcc_lo, v1, v7
	v_add_co_ci_u32_e32 v3, vcc_lo, v3, v10, vcc_lo
	v_mul_hi_u32 v7, v8, v1
	v_mad_u64_u32 v[12:13], null, v9, v1, 0
	v_mad_u64_u32 v[10:11], null, v8, v3, 0
	v_mad_u64_u32 v[14:15], null, v9, v3, 0
	v_add_co_u32 v1, vcc_lo, v7, v10
	v_add_co_ci_u32_e32 v3, vcc_lo, 0, v11, vcc_lo
	v_add_co_u32 v1, vcc_lo, v1, v12
	v_add_co_ci_u32_e32 v1, vcc_lo, v3, v13, vcc_lo
	v_add_co_ci_u32_e32 v3, vcc_lo, 0, v15, vcc_lo
	v_add_co_u32 v1, vcc_lo, v1, v14
	v_add_co_ci_u32_e32 v3, vcc_lo, 0, v3, vcc_lo
	v_mul_lo_u32 v7, s21, v1
	v_mad_u64_u32 v[10:11], null, s20, v1, 0
	v_mul_lo_u32 v12, s20, v3
	v_sub_co_u32 v10, vcc_lo, v8, v10
	v_add3_u32 v7, v11, v12, v7
	v_sub_nc_u32_e32 v11, v9, v7
	v_subrev_co_ci_u32_e64 v11, s0, s21, v11, vcc_lo
	v_add_co_u32 v12, s0, v1, 2
	v_add_co_ci_u32_e64 v13, s0, 0, v3, s0
	v_sub_co_u32 v14, s0, v10, s20
	v_sub_co_ci_u32_e32 v7, vcc_lo, v9, v7, vcc_lo
	v_subrev_co_ci_u32_e64 v11, s0, 0, v11, s0
	v_cmp_le_u32_e32 vcc_lo, s20, v14
	v_cmp_eq_u32_e64 s0, s21, v7
	v_cndmask_b32_e64 v14, 0, -1, vcc_lo
	v_cmp_le_u32_e32 vcc_lo, s21, v11
	v_cndmask_b32_e64 v15, 0, -1, vcc_lo
	v_cmp_le_u32_e32 vcc_lo, s20, v10
	;; [unrolled: 2-line block ×3, first 2 shown]
	v_cndmask_b32_e64 v16, 0, -1, vcc_lo
	v_cmp_eq_u32_e32 vcc_lo, s21, v11
	v_cndmask_b32_e64 v7, v16, v10, s0
	v_cndmask_b32_e32 v11, v15, v14, vcc_lo
	v_add_co_u32 v14, vcc_lo, v1, 1
	v_add_co_ci_u32_e32 v15, vcc_lo, 0, v3, vcc_lo
	v_cmp_ne_u32_e32 vcc_lo, 0, v11
	v_cndmask_b32_e32 v10, v15, v13, vcc_lo
	v_cndmask_b32_e32 v12, v14, v12, vcc_lo
	v_cmp_ne_u32_e32 vcc_lo, 0, v7
	v_cndmask_b32_e32 v11, v3, v10, vcc_lo
	v_cndmask_b32_e32 v10, v1, v12, vcc_lo
.LBB0_4:                                ;   in Loop: Header=BB0_2 Depth=1
	s_andn2_saveexec_b32 s0, s1
	s_cbranch_execz .LBB0_6
; %bb.5:                                ;   in Loop: Header=BB0_2 Depth=1
	v_cvt_f32_u32_e32 v1, s20
	s_sub_i32 s1, 0, s20
	v_mov_b32_e32 v11, v6
	v_rcp_iflag_f32_e32 v1, v1
	v_mul_f32_e32 v1, 0x4f7ffffe, v1
	v_cvt_u32_f32_e32 v1, v1
	v_mul_lo_u32 v3, s1, v1
	v_mul_hi_u32 v3, v1, v3
	v_add_nc_u32_e32 v1, v1, v3
	v_mul_hi_u32 v1, v8, v1
	v_mul_lo_u32 v3, v1, s20
	v_add_nc_u32_e32 v7, 1, v1
	v_sub_nc_u32_e32 v3, v8, v3
	v_subrev_nc_u32_e32 v10, s20, v3
	v_cmp_le_u32_e32 vcc_lo, s20, v3
	v_cndmask_b32_e32 v3, v3, v10, vcc_lo
	v_cndmask_b32_e32 v1, v1, v7, vcc_lo
	v_cmp_le_u32_e32 vcc_lo, s20, v3
	v_add_nc_u32_e32 v7, 1, v1
	v_cndmask_b32_e32 v10, v1, v7, vcc_lo
.LBB0_6:                                ;   in Loop: Header=BB0_2 Depth=1
	s_or_b32 exec_lo, exec_lo, s0
	s_load_dwordx2 s[0:1], s[6:7], 0x0
	v_mul_lo_u32 v1, v11, s20
	v_mul_lo_u32 v3, v10, s21
	v_mad_u64_u32 v[12:13], null, v10, s20, 0
	s_add_u32 s18, s18, 1
	s_addc_u32 s19, s19, 0
	s_add_u32 s6, s6, 8
	s_addc_u32 s7, s7, 0
	s_add_u32 s16, s16, 8
	s_addc_u32 s17, s17, 0
	v_add3_u32 v1, v13, v3, v1
	v_sub_co_u32 v3, vcc_lo, v8, v12
	v_sub_co_ci_u32_e32 v1, vcc_lo, v9, v1, vcc_lo
	s_waitcnt lgkmcnt(0)
	v_mul_lo_u32 v7, s1, v3
	v_mul_lo_u32 v1, s0, v1
	v_mad_u64_u32 v[4:5], null, s0, v3, v[4:5]
	v_cmp_ge_u64_e64 s0, s[18:19], s[10:11]
	s_and_b32 vcc_lo, exec_lo, s0
	v_add3_u32 v5, v7, v5, v1
	s_cbranch_vccnz .LBB0_8
; %bb.7:                                ;   in Loop: Header=BB0_2 Depth=1
	v_mov_b32_e32 v8, v10
	v_mov_b32_e32 v9, v11
	s_branch .LBB0_2
.LBB0_8:
	s_lshl_b64 s[0:1], s[10:11], 3
	v_mul_hi_u32 v1, 0x1c71c71d, v0
	s_add_u32 s0, s14, s0
	s_addc_u32 s1, s15, s1
	s_load_dwordx2 s[0:1], s[0:1], 0x0
	s_load_dwordx2 s[4:5], s[4:5], 0x20
	v_mul_u32_u24_e32 v1, 9, v1
	v_sub_nc_u32_e32 v35, v0, v1
	v_add_nc_u32_e32 v40, 9, v35
	v_add_nc_u32_e32 v41, 18, v35
	s_waitcnt lgkmcnt(0)
	v_mul_lo_u32 v6, s0, v11
	v_mul_lo_u32 v7, s1, v10
	v_mad_u64_u32 v[3:4], null, s0, v10, v[4:5]
	v_cmp_gt_u64_e32 vcc_lo, s[4:5], v[10:11]
	v_cmp_le_u64_e64 s0, s[4:5], v[10:11]
                                        ; implicit-def: $sgpr4
	v_add3_u32 v4, v7, v4, v6
	s_and_saveexec_b32 s1, s0
	s_xor_b32 s0, exec_lo, s1
; %bb.9:
	v_add_nc_u32_e32 v40, 9, v35
	v_add_nc_u32_e32 v41, 18, v35
	s_mov_b32 s4, 0
; %bb.10:
	s_or_saveexec_b32 s1, s0
	v_lshlrev_b64 v[0:1], 3, v[3:4]
	v_mov_b32_e32 v36, s4
                                        ; implicit-def: $vgpr28
                                        ; implicit-def: $vgpr26
                                        ; implicit-def: $vgpr4
                                        ; implicit-def: $vgpr14
                                        ; implicit-def: $vgpr18
                                        ; implicit-def: $vgpr12
                                        ; implicit-def: $vgpr22
                                        ; implicit-def: $vgpr24
                                        ; implicit-def: $vgpr6
                                        ; implicit-def: $vgpr16
                                        ; implicit-def: $vgpr20
                                        ; implicit-def: $vgpr10
	s_xor_b32 exec_lo, exec_lo, s1
	s_cbranch_execz .LBB0_14
; %bb.11:
	v_mad_u64_u32 v[5:6], null, s2, v35, 0
	v_add_nc_u32_e32 v7, 30, v35
	v_add_nc_u32_e32 v16, 60, v35
	v_mad_u64_u32 v[12:13], null, s2, v40, 0
	v_add_nc_u32_e32 v19, 0x45, v35
	v_mad_u64_u32 v[8:9], null, s2, v7, 0
	v_mov_b32_e32 v3, v6
	v_mad_u64_u32 v[10:11], null, s2, v16, 0
	v_mad_u64_u32 v[21:22], null, s2, v19, 0
	;; [unrolled: 1-line block ×3, first 2 shown]
	v_mov_b32_e32 v4, v9
	v_or_b32_e32 v31, 48, v35
	v_add_nc_u32_e32 v32, 0x4e, v35
	s_mov_b32 s4, exec_lo
	v_mad_u64_u32 v[14:15], null, s3, v7, v[4:5]
	v_mov_b32_e32 v6, v3
	v_add_co_u32 v4, s0, s12, v0
	v_add_co_ci_u32_e64 v7, s0, s13, v1, s0
	v_lshlrev_b64 v[5:6], 3, v[5:6]
	v_mov_b32_e32 v9, v14
	v_mad_u64_u32 v[14:15], null, s3, v16, v[11:12]
	v_add_nc_u32_e32 v16, 39, v35
	v_mov_b32_e32 v3, v13
	v_lshlrev_b64 v[8:9], 3, v[8:9]
	v_add_co_u32 v5, s0, v4, v5
	v_mad_u64_u32 v[17:18], null, s2, v16, 0
	v_mov_b32_e32 v11, v14
	v_add_co_ci_u32_e64 v6, s0, v7, v6, s0
	v_mad_u64_u32 v[13:14], null, s3, v40, v[3:4]
	v_add_co_u32 v14, s0, v4, v8
	v_add_co_ci_u32_e64 v15, s0, v7, v9, s0
	v_lshlrev_b64 v[8:9], 3, v[10:11]
	v_mov_b32_e32 v3, v18
	v_mad_u64_u32 v[27:28], null, s2, v31, 0
	v_mad_u64_u32 v[29:30], null, s2, v32, 0
	v_add_co_u32 v23, s0, v4, v8
	v_mad_u64_u32 v[10:11], null, s3, v16, v[3:4]
	v_add_co_ci_u32_e64 v24, s0, v7, v9, s0
	v_lshlrev_b64 v[8:9], 3, v[12:13]
	v_mad_u64_u32 v[11:12], null, s2, v41, 0
	v_mov_b32_e32 v3, v22
	v_mov_b32_e32 v18, v10
	v_add_co_u32 v25, s0, v4, v8
	v_add_co_ci_u32_e64 v26, s0, v7, v9, s0
	v_mad_u64_u32 v[8:9], null, s3, v19, v[3:4]
	v_mov_b32_e32 v3, v12
	s_clause 0x3
	global_load_dwordx2 v[9:10], v[5:6], off
	global_load_dwordx2 v[19:20], v[14:15], off
	;; [unrolled: 1-line block ×4, first 2 shown]
	v_mad_u64_u32 v[12:13], null, s3, v41, v[3:4]
	v_mov_b32_e32 v3, v28
	v_lshlrev_b64 v[13:14], 3, v[17:18]
	v_mov_b32_e32 v22, v8
	v_mad_u64_u32 v[17:18], null, s3, v31, v[3:4]
	v_mov_b32_e32 v3, v30
	v_lshlrev_b64 v[21:22], 3, v[21:22]
	v_add_co_u32 v13, s0, v4, v13
	v_add_co_ci_u32_e64 v14, s0, v7, v14, s0
	v_mad_u64_u32 v[23:24], null, s3, v32, v[3:4]
	v_mov_b32_e32 v28, v17
	v_lshlrev_b64 v[11:12], 3, v[11:12]
	v_add_co_u32 v17, s0, v4, v21
	v_add_co_ci_u32_e64 v18, s0, v7, v22, s0
	v_mov_b32_e32 v30, v23
	v_lshlrev_b64 v[21:22], 3, v[27:28]
	v_add_co_u32 v11, s0, v4, v11
	v_add_co_ci_u32_e64 v12, s0, v7, v12, s0
	v_lshlrev_b64 v[23:24], 3, v[29:30]
	v_add_co_u32 v25, s0, v4, v21
	v_add_co_ci_u32_e64 v26, s0, v7, v22, s0
                                        ; implicit-def: $vgpr3
	v_add_co_u32 v27, s0, v4, v23
	v_add_co_ci_u32_e64 v28, s0, v7, v24, s0
	s_clause 0x4
	global_load_dwordx2 v[23:24], v[13:14], off
	global_load_dwordx2 v[21:22], v[17:18], off
	global_load_dwordx2 v[11:12], v[11:12], off
	global_load_dwordx2 v[17:18], v[25:26], off
	global_load_dwordx2 v[13:14], v[27:28], off
                                        ; implicit-def: $vgpr25
                                        ; implicit-def: $vgpr27
	v_cmpx_gt_u32_e32 3, v35
	s_cbranch_execz .LBB0_13
; %bb.12:
	v_add_nc_u32_e32 v31, 27, v35
	v_add_nc_u32_e32 v32, 57, v35
	;; [unrolled: 1-line block ×3, first 2 shown]
	v_mad_u64_u32 v[25:26], null, s2, v31, 0
	v_mad_u64_u32 v[27:28], null, s2, v32, 0
	;; [unrolled: 1-line block ×3, first 2 shown]
	v_mov_b32_e32 v3, v26
	v_mov_b32_e32 v8, v28
	;; [unrolled: 1-line block ×3, first 2 shown]
	v_mad_u64_u32 v[30:31], null, s3, v31, v[3:4]
	s_waitcnt vmcnt(8)
	v_mad_u64_u32 v[31:32], null, s3, v32, v[8:9]
	v_mad_u64_u32 v[32:33], null, s3, v33, v[26:27]
	v_mov_b32_e32 v26, v30
	v_mov_b32_e32 v28, v31
	;; [unrolled: 1-line block ×3, first 2 shown]
	v_lshlrev_b64 v[25:26], 3, v[25:26]
	v_lshlrev_b64 v[27:28], 3, v[27:28]
	;; [unrolled: 1-line block ×3, first 2 shown]
	v_add_co_u32 v25, s0, v4, v25
	v_add_co_ci_u32_e64 v26, s0, v7, v26, s0
	v_add_co_u32 v27, s0, v4, v27
	v_add_co_ci_u32_e64 v28, s0, v7, v28, s0
	;; [unrolled: 2-line block ×3, first 2 shown]
	s_clause 0x2
	global_load_dwordx2 v[3:4], v[25:26], off
	global_load_dwordx2 v[25:26], v[27:28], off
	;; [unrolled: 1-line block ×3, first 2 shown]
.LBB0_13:
	s_or_b32 exec_lo, exec_lo, s4
	v_mov_b32_e32 v36, v35
.LBB0_14:
	s_or_b32 exec_lo, exec_lo, s1
	v_mul_hi_u32 v7, 0x24924925, v2
	s_waitcnt vmcnt(6)
	v_add_f32_e32 v33, v15, v19
	s_waitcnt vmcnt(0)
	v_add_f32_e32 v42, v13, v17
	v_add_f32_e32 v45, v27, v25
	;; [unrolled: 1-line block ×4, first 2 shown]
	v_sub_f32_e32 v34, v20, v16
	v_add_f32_e32 v39, v17, v11
	v_sub_nc_u32_e32 v8, v2, v7
	v_add_f32_e32 v44, v25, v3
	v_sub_f32_e32 v48, v26, v28
	v_mad_u32_u24 v29, v35, 12, 0
	v_mad_i32_i24 v30, v40, 12, 0
	v_lshrrev_b32_e32 v8, 1, v8
	v_mad_i32_i24 v31, v41, 12, 0
	v_fmac_f32_e32 v9, -0.5, v33
	v_fmac_f32_e32 v11, -0.5, v42
	;; [unrolled: 1-line block ×3, first 2 shown]
	v_add_nc_u32_e32 v7, v8, v7
	v_add_f32_e32 v8, v23, v5
	v_sub_f32_e32 v38, v24, v22
	v_fmac_f32_e32 v5, -0.5, v37
	v_sub_f32_e32 v43, v18, v14
	v_lshrrev_b32_e32 v7, 2, v7
	v_cmp_gt_u32_e64 s0, 3, v35
	v_add_f32_e32 v32, v15, v32
	v_add_f32_e32 v33, v21, v8
	;; [unrolled: 1-line block ×3, first 2 shown]
	v_mul_lo_u32 v7, v7, 7
	v_fmamk_f32 v39, v34, 0xbf5db3d7, v9
	v_fmamk_f32 v8, v48, 0xbf5db3d7, v3
	v_fmac_f32_e32 v3, 0x3f5db3d7, v48
	v_fmac_f32_e32 v9, 0x3f5db3d7, v34
	v_fmamk_f32 v34, v38, 0xbf5db3d7, v5
	v_fmac_f32_e32 v5, 0x3f5db3d7, v38
	v_fmamk_f32 v38, v43, 0xbf5db3d7, v11
	v_sub_nc_u32_e32 v2, v2, v7
	v_add_f32_e32 v7, v27, v44
	v_fmac_f32_e32 v11, 0x3f5db3d7, v43
	v_mul_u32_u24_e32 v2, 0x5a, v2
	v_lshlrev_b32_e32 v42, 2, v2
	v_add_nc_u32_e32 v46, v29, v42
	v_add_nc_u32_e32 v47, v30, v42
	;; [unrolled: 1-line block ×3, first 2 shown]
	ds_write2_b32 v46, v32, v39 offset1:1
	ds_write_b32 v46, v9 offset:8
	ds_write2_b32 v47, v33, v34 offset1:1
	ds_write_b32 v47, v5 offset:8
	ds_write2_b32 v48, v37, v38 offset1:1
	ds_write_b32 v48, v11 offset:8
	s_and_saveexec_b32 s1, s0
	s_cbranch_execz .LBB0_16
; %bb.15:
	v_lshl_add_u32 v2, v2, 2, v29
	ds_write2_b32 v2, v7, v8 offset0:81 offset1:82
	ds_write_b32 v2, v3 offset:332
.LBB0_16:
	s_or_b32 exec_lo, exec_lo, s1
	v_lshlrev_b32_e32 v2, 3, v35
	v_lshlrev_b32_e32 v5, 3, v40
	;; [unrolled: 1-line block ×3, first 2 shown]
	s_waitcnt lgkmcnt(0)
	s_barrier
	v_sub_nc_u32_e32 v11, v29, v2
	v_lshlrev_b32_e32 v2, 2, v35
	v_sub_nc_u32_e32 v5, v30, v5
	v_sub_nc_u32_e32 v9, v31, v9
	buffer_gl0_inv
	v_add_nc_u32_e32 v49, v11, v42
	v_add3_u32 v37, 0, v42, v2
	v_add_nc_u32_e32 v38, v5, v42
	v_add_nc_u32_e32 v39, v9, v42
	ds_read2_b32 v[33:34], v49 offset0:30 offset1:39
	ds_read2_b32 v[31:32], v49 offset0:48 offset1:60
	;; [unrolled: 1-line block ×3, first 2 shown]
	ds_read_b32 v45, v37
	ds_read_b32 v44, v38
	;; [unrolled: 1-line block ×3, first 2 shown]
	s_and_saveexec_b32 s1, s0
	s_cbranch_execz .LBB0_18
; %bb.17:
	ds_read2_b32 v[7:8], v49 offset0:27 offset1:57
	ds_read_b32 v3, v49 offset:348
.LBB0_18:
	s_or_b32 exec_lo, exec_lo, s1
	v_add_f32_e32 v5, v16, v20
	v_sub_f32_e32 v11, v19, v15
	v_add_f32_e32 v15, v22, v24
	v_add_f32_e32 v9, v20, v10
	v_sub_f32_e32 v19, v23, v21
	v_fmac_f32_e32 v10, -0.5, v5
	v_add_f32_e32 v5, v24, v6
	v_fmac_f32_e32 v6, -0.5, v15
	v_add_f32_e32 v9, v16, v9
	s_waitcnt lgkmcnt(0)
	v_fmamk_f32 v15, v11, 0x3f5db3d7, v10
	v_fmac_f32_e32 v10, 0xbf5db3d7, v11
	v_add_f32_e32 v11, v14, v18
	v_fmamk_f32 v16, v19, 0x3f5db3d7, v6
	v_fmac_f32_e32 v6, 0xbf5db3d7, v19
	v_add_f32_e32 v19, v28, v26
	v_add_f32_e32 v18, v18, v12
	v_fmac_f32_e32 v12, -0.5, v11
	v_sub_f32_e32 v11, v17, v13
	v_add_f32_e32 v13, v26, v4
	v_fmac_f32_e32 v4, -0.5, v19
	v_sub_f32_e32 v17, v25, v27
	v_add_f32_e32 v19, v14, v18
	v_add_nc_u32_e32 v18, 27, v35
	v_add_f32_e32 v13, v28, v13
	v_add_f32_e32 v5, v22, v5
	v_fmamk_f32 v14, v17, 0x3f5db3d7, v4
	v_fmac_f32_e32 v4, 0xbf5db3d7, v17
	v_fmamk_f32 v20, v11, 0x3f5db3d7, v12
	v_fmac_f32_e32 v12, 0xbf5db3d7, v11
	s_barrier
	buffer_gl0_inv
	ds_write2_b32 v46, v9, v15 offset1:1
	ds_write_b32 v46, v10 offset:8
	ds_write2_b32 v47, v5, v16 offset1:1
	ds_write_b32 v47, v6 offset:8
	;; [unrolled: 2-line block ×3, first 2 shown]
	s_and_saveexec_b32 s1, s0
	s_cbranch_execz .LBB0_20
; %bb.19:
	v_mul_u32_u24_e32 v5, 12, v18
	v_add3_u32 v5, 0, v5, v42
	ds_write2_b32 v5, v13, v14 offset1:1
	ds_write_b32 v5, v4 offset:8
.LBB0_20:
	s_or_b32 exec_lo, exec_lo, s1
	s_waitcnt lgkmcnt(0)
	s_barrier
	buffer_gl0_inv
	ds_read2_b32 v[11:12], v49 offset0:30 offset1:39
	ds_read2_b32 v[5:6], v49 offset0:48 offset1:60
	;; [unrolled: 1-line block ×3, first 2 shown]
	ds_read_b32 v17, v37
	ds_read_b32 v16, v38
	;; [unrolled: 1-line block ×3, first 2 shown]
	s_and_saveexec_b32 s1, s0
	s_cbranch_execz .LBB0_22
; %bb.21:
	ds_read2_b32 v[13:14], v49 offset0:27 offset1:57
	ds_read_b32 v4, v49 offset:348
.LBB0_22:
	s_or_b32 exec_lo, exec_lo, s1
	v_and_b32_e32 v19, 0xff, v35
	v_and_b32_e32 v20, 0xff, v40
	;; [unrolled: 1-line block ×4, first 2 shown]
	v_mov_b32_e32 v24, 4
	v_mul_lo_u16 v19, 0xab, v19
	v_mul_lo_u16 v20, 0xab, v20
	;; [unrolled: 1-line block ×4, first 2 shown]
	v_mov_b32_e32 v46, 2
	v_lshrrev_b16 v19, 9, v19
	v_lshrrev_b16 v20, 9, v20
	;; [unrolled: 1-line block ×4, first 2 shown]
	v_mul_lo_u16 v23, v19, 3
	v_mul_lo_u16 v25, v20, 3
	;; [unrolled: 1-line block ×4, first 2 shown]
	v_and_b32_e32 v21, 0xffff, v21
	v_sub_nc_u16 v23, v35, v23
	v_sub_nc_u16 v25, v40, v25
	;; [unrolled: 1-line block ×4, first 2 shown]
	v_and_b32_e32 v19, 0xffff, v19
	v_lshlrev_b32_sdwa v27, v24, v23 dst_sel:DWORD dst_unused:UNUSED_PAD src0_sel:DWORD src1_sel:BYTE_0
	v_lshlrev_b32_sdwa v28, v24, v25 dst_sel:DWORD dst_unused:UNUSED_PAD src0_sel:DWORD src1_sel:BYTE_0
	;; [unrolled: 1-line block ×4, first 2 shown]
	v_and_b32_e32 v20, 0xffff, v20
	s_clause 0x3
	global_load_dwordx4 v[47:50], v27, s[8:9]
	global_load_dwordx4 v[51:54], v28, s[8:9]
	;; [unrolled: 1-line block ×4, first 2 shown]
	v_mad_u32_u24 v21, v21, 36, 0
	v_lshlrev_b32_sdwa v24, v46, v25 dst_sel:DWORD dst_unused:UNUSED_PAD src0_sel:DWORD src1_sel:BYTE_0
	v_lshlrev_b32_sdwa v25, v46, v26 dst_sel:DWORD dst_unused:UNUSED_PAD src0_sel:DWORD src1_sel:BYTE_0
	v_mad_u32_u24 v19, v19, 36, 0
	v_mad_u32_u24 v20, v20, 36, 0
	v_lshlrev_b32_sdwa v22, v46, v23 dst_sel:DWORD dst_unused:UNUSED_PAD src0_sel:DWORD src1_sel:BYTE_0
	s_waitcnt vmcnt(0) lgkmcnt(0)
	v_add3_u32 v21, v21, v25, v42
	s_barrier
	buffer_gl0_inv
	v_add3_u32 v23, v19, v22, v42
	v_add3_u32 v22, v20, v24, v42
	v_mul_f32_e32 v40, v11, v48
	v_mul_f32_e32 v41, v6, v50
	;; [unrolled: 1-line block ×15, first 2 shown]
	v_fmac_f32_e32 v40, v33, v47
	v_fmac_f32_e32 v41, v32, v49
	;; [unrolled: 1-line block ×6, first 2 shown]
	v_mul_f32_e32 v20, v4, v62
	v_fma_f32 v33, v11, v47, -v24
	v_fma_f32 v6, v6, v49, -v48
	v_fma_f32 v24, v14, v59, -v58
	v_fma_f32 v14, v4, v61, -v60
	v_add_f32_e32 v4, v40, v41
	v_fma_f32 v11, v12, v51, -v50
	v_fma_f32 v29, v9, v53, -v52
	v_add_f32_e32 v9, v25, v27
	v_fma_f32 v31, v5, v55, -v54
	v_fma_f32 v30, v10, v57, -v56
	v_add_f32_e32 v32, v26, v28
	v_fmac_f32_e32 v20, v3, v61
	v_add_f32_e32 v3, v45, v40
	v_sub_f32_e32 v5, v33, v6
	v_fmac_f32_e32 v45, -0.5, v4
	v_fmac_f32_e32 v19, v8, v59
	v_add_f32_e32 v8, v44, v25
	v_sub_f32_e32 v10, v11, v29
	v_fmac_f32_e32 v44, -0.5, v9
	v_add_f32_e32 v12, v43, v26
	v_sub_f32_e32 v34, v31, v30
	v_fmac_f32_e32 v43, -0.5, v32
	v_add_f32_e32 v3, v3, v41
	v_fmamk_f32 v9, v5, 0xbf5db3d7, v45
	v_fmac_f32_e32 v45, 0x3f5db3d7, v5
	v_add_f32_e32 v4, v8, v27
	v_fmamk_f32 v5, v10, 0xbf5db3d7, v44
	v_fmac_f32_e32 v44, 0x3f5db3d7, v10
	;; [unrolled: 3-line block ×3, first 2 shown]
	ds_write2_b32 v23, v3, v9 offset1:3
	ds_write_b32 v23, v45 offset:24
	ds_write2_b32 v22, v4, v5 offset1:3
	ds_write_b32 v22, v44 offset:24
	;; [unrolled: 2-line block ×3, first 2 shown]
	s_and_saveexec_b32 s1, s0
	s_cbranch_execz .LBB0_24
; %bb.23:
	v_add_f32_e32 v3, v19, v20
	v_lshlrev_b32_sdwa v4, v46, v18 dst_sel:DWORD dst_unused:UNUSED_PAD src0_sel:DWORD src1_sel:BYTE_0
	v_sub_f32_e32 v5, v24, v14
	v_add_f32_e32 v8, v7, v19
	v_fma_f32 v3, -0.5, v3, v7
	v_add3_u32 v4, 0, v4, v42
	v_add_f32_e32 v7, v8, v20
	v_fmamk_f32 v8, v5, 0x3f5db3d7, v3
	v_fmac_f32_e32 v3, 0xbf5db3d7, v5
	ds_write2_b32 v4, v7, v3 offset0:81 offset1:84
	ds_write_b32 v4, v8 offset:348
.LBB0_24:
	s_or_b32 exec_lo, exec_lo, s1
	v_add_f32_e32 v3, v33, v6
	v_add_f32_e32 v4, v17, v33
	v_sub_f32_e32 v5, v40, v41
	v_add_f32_e32 v7, v11, v29
	v_add3_u32 v12, 0, v2, v42
	v_fmac_f32_e32 v17, -0.5, v3
	v_add_f32_e32 v32, v16, v11
	v_add_f32_e32 v33, v4, v6
	v_fmac_f32_e32 v16, -0.5, v7
	s_waitcnt lgkmcnt(0)
	v_fmamk_f32 v34, v5, 0x3f5db3d7, v17
	v_fmac_f32_e32 v17, 0xbf5db3d7, v5
	s_barrier
	buffer_gl0_inv
	ds_read2_b32 v[6:7], v12 offset0:27 offset1:36
	ds_read2_b32 v[4:5], v12 offset0:45 offset1:54
	;; [unrolled: 1-line block ×3, first 2 shown]
	ds_read_b32 v8, v37
	ds_read_b32 v9, v38
	;; [unrolled: 1-line block ×3, first 2 shown]
	ds_read_b32 v10, v12 offset:324
	v_add_f32_e32 v40, v31, v30
	v_sub_f32_e32 v25, v25, v27
	v_add_f32_e32 v27, v15, v31
	v_sub_f32_e32 v26, v26, v28
	v_add_f32_e32 v28, v32, v29
	v_fmac_f32_e32 v15, -0.5, v40
	v_fmamk_f32 v29, v25, 0x3f5db3d7, v16
	v_fmac_f32_e32 v16, 0xbf5db3d7, v25
	v_add_f32_e32 v25, v27, v30
	s_waitcnt lgkmcnt(0)
	v_fmamk_f32 v27, v26, 0x3f5db3d7, v15
	v_fmac_f32_e32 v15, 0xbf5db3d7, v26
	s_barrier
	buffer_gl0_inv
	ds_write2_b32 v23, v33, v34 offset1:3
	ds_write_b32 v23, v17 offset:24
	ds_write2_b32 v22, v28, v29 offset1:3
	ds_write_b32 v22, v16 offset:24
	;; [unrolled: 2-line block ×3, first 2 shown]
	s_and_saveexec_b32 s1, s0
	s_cbranch_execz .LBB0_26
; %bb.25:
	v_add_f32_e32 v15, v24, v14
	v_mov_b32_e32 v16, 2
	v_add_f32_e32 v17, v13, v24
	v_sub_f32_e32 v19, v19, v20
	v_fmac_f32_e32 v13, -0.5, v15
	v_lshlrev_b32_sdwa v15, v16, v18 dst_sel:DWORD dst_unused:UNUSED_PAD src0_sel:DWORD src1_sel:BYTE_0
	v_add_f32_e32 v14, v17, v14
	v_fmamk_f32 v16, v19, 0x3f5db3d7, v13
	v_add3_u32 v15, 0, v15, v42
	v_fmamk_f32 v13, v19, 0xbf5db3d7, v13
	ds_write2_b32 v15, v14, v16 offset0:81 offset1:84
	ds_write_b32 v15, v13 offset:348
.LBB0_26:
	s_or_b32 exec_lo, exec_lo, s1
	s_waitcnt lgkmcnt(0)
	s_barrier
	buffer_gl0_inv
	s_and_saveexec_b32 s0, vcc_lo
	s_cbranch_execz .LBB0_28
; %bb.27:
	v_mad_u64_u32 v[29:30], null, s2, v36, 0
	v_mul_u32_u24_e32 v13, 9, v35
	v_add_nc_u32_e32 v43, 18, v36
	v_add_nc_u32_e32 v35, 9, v36
	;; [unrolled: 1-line block ×3, first 2 shown]
	v_add_co_u32 v60, vcc_lo, s12, v0
	v_lshlrev_b32_e32 v57, 3, v13
	v_mov_b32_e32 v13, v30
	v_mad_u64_u32 v[33:34], null, s2, v43, 0
	v_mad_u64_u32 v[31:32], null, s2, v35, 0
	;; [unrolled: 1-line block ×4, first 2 shown]
	v_mov_b32_e32 v0, v34
	v_add_co_ci_u32_e32 v61, vcc_lo, s13, v1, vcc_lo
	v_mad_u64_u32 v[34:35], null, s3, v35, v[32:33]
	v_mad_u64_u32 v[0:1], null, s3, v43, v[0:1]
	v_mov_b32_e32 v1, v42
	v_mov_b32_e32 v30, v40
	v_add_nc_u32_e32 v35, 36, v36
	v_add_nc_u32_e32 v40, 45, v36
	;; [unrolled: 1-line block ×3, first 2 shown]
	v_mad_u64_u32 v[45:46], null, s3, v45, v[1:2]
	v_mad_u64_u32 v[43:44], null, s2, v35, 0
	v_mad_u64_u32 v[46:47], null, s2, v40, 0
	v_mad_u64_u32 v[48:49], null, s2, v52, 0
	v_mov_b32_e32 v32, v34
	v_mov_b32_e32 v34, v0
	;; [unrolled: 1-line block ×3, first 2 shown]
	s_clause 0x3
	global_load_dwordx4 v[13:16], v57, s[8:9] offset:96
	global_load_dwordx4 v[17:20], v57, s[8:9] offset:80
	;; [unrolled: 1-line block ×4, first 2 shown]
	v_mov_b32_e32 v1, v47
	v_mov_b32_e32 v42, v45
	v_add_nc_u32_e32 v55, 0x51, v36
	ds_read2_b32 v[58:59], v12 offset0:27 offset1:36
	v_lshlrev_b64 v[29:30], 3, v[29:30]
	v_mad_u64_u32 v[44:45], null, s3, v35, v[0:1]
	v_mad_u64_u32 v[0:1], null, s3, v40, v[1:2]
	v_mov_b32_e32 v1, v49
	v_add_nc_u32_e32 v45, 63, v36
	v_add_nc_u32_e32 v40, 0x48, v36
	v_mad_u64_u32 v[35:36], null, s2, v55, 0
	v_mad_u64_u32 v[52:53], null, s3, v52, v[1:2]
	;; [unrolled: 1-line block ×4, first 2 shown]
	v_mov_b32_e32 v47, v0
	v_lshlrev_b64 v[31:32], 3, v[31:32]
	v_mov_b32_e32 v49, v52
	v_lshlrev_b64 v[33:34], 3, v[33:34]
	v_mov_b32_e32 v0, v51
	v_add_co_u32 v29, vcc_lo, v60, v29
	v_mov_b32_e32 v1, v54
	v_add_co_ci_u32_e32 v30, vcc_lo, v61, v30, vcc_lo
	v_add_co_u32 v31, vcc_lo, v60, v31
	v_mad_u64_u32 v[51:52], null, s3, v45, v[0:1]
	v_mad_u64_u32 v[0:1], null, s3, v40, v[1:2]
	v_mov_b32_e32 v1, v36
	v_lshlrev_b64 v[40:41], 3, v[41:42]
	v_lshlrev_b64 v[42:43], 3, v[43:44]
	;; [unrolled: 1-line block ×4, first 2 shown]
	v_mad_u64_u32 v[55:56], null, s3, v55, v[1:2]
	global_load_dwordx2 v[56:57], v57, s[8:9] offset:112
	v_mov_b32_e32 v54, v0
	ds_read2_b32 v[0:1], v12 offset0:45 offset1:54
	v_lshlrev_b64 v[48:49], 3, v[50:51]
	v_add_co_ci_u32_e32 v32, vcc_lo, v61, v32, vcc_lo
	v_lshlrev_b64 v[50:51], 3, v[53:54]
	v_mov_b32_e32 v36, v55
	v_add_co_u32 v33, vcc_lo, v60, v33
	v_add_co_ci_u32_e32 v34, vcc_lo, v61, v34, vcc_lo
	v_add_co_u32 v40, vcc_lo, v60, v40
	v_add_co_ci_u32_e32 v41, vcc_lo, v61, v41, vcc_lo
	v_add_co_u32 v42, vcc_lo, v60, v42
	v_add_co_ci_u32_e32 v43, vcc_lo, v61, v43, vcc_lo
	v_add_co_u32 v44, vcc_lo, v60, v44
	v_add_co_ci_u32_e32 v45, vcc_lo, v61, v45, vcc_lo
	v_add_co_u32 v46, vcc_lo, v60, v46
	v_add_co_ci_u32_e32 v47, vcc_lo, v61, v47, vcc_lo
	v_lshlrev_b64 v[35:36], 3, v[35:36]
	v_add_co_u32 v48, vcc_lo, v60, v48
	v_add_co_ci_u32_e32 v49, vcc_lo, v61, v49, vcc_lo
	v_add_co_u32 v50, vcc_lo, v60, v50
	v_add_co_ci_u32_e32 v51, vcc_lo, v61, v51, vcc_lo
	;; [unrolled: 2-line block ×3, first 2 shown]
	s_waitcnt vmcnt(3)
	v_mul_f32_e32 v55, v4, v17
	v_mul_f32_e32 v4, v4, v18
	s_waitcnt vmcnt(1) lgkmcnt(1)
	v_mul_f32_e32 v52, v59, v28
	v_mul_f32_e32 v28, v7, v28
	;; [unrolled: 1-line block ×4, first 2 shown]
	s_waitcnt lgkmcnt(0)
	v_fmac_f32_e32 v55, v0, v18
	v_fmac_f32_e32 v52, v7, v27
	ds_read2_b32 v[6:7], v12 offset0:63 offset1:72
	ds_read_b32 v39, v39
	ds_read_b32 v12, v12 offset:324
	ds_read_b32 v38, v38
	v_fma_f32 v27, v59, v27, -v28
	v_fma_f32 v25, v58, v25, -v54
	v_mul_f32_e32 v54, v3, v16
	v_mul_f32_e32 v28, v1, v20
	v_fmac_f32_e32 v53, v58, v26
	v_mul_f32_e32 v26, v11, v24
	v_mul_f32_e32 v20, v5, v20
	v_fma_f32 v0, v0, v17, -v4
	v_fmac_f32_e32 v28, v5, v19
	v_mul_f32_e32 v5, v2, v13
	v_mul_f32_e32 v2, v2, v14
	v_fma_f32 v1, v1, v19, -v20
	v_sub_f32_e32 v58, v55, v53
	s_waitcnt lgkmcnt(3)
	v_mul_f32_e32 v16, v7, v16
	s_waitcnt lgkmcnt(2)
	v_fma_f32 v26, v39, v23, -v26
	v_fma_f32 v7, v7, v15, -v54
	v_fmac_f32_e32 v5, v6, v14
	v_fma_f32 v2, v6, v13, -v2
	v_fmac_f32_e32 v16, v3, v15
	v_mul_f32_e32 v3, v39, v24
	ds_read_b32 v24, v37
	v_sub_f32_e32 v6, v26, v27
	v_sub_f32_e32 v15, v53, v55
	;; [unrolled: 1-line block ×3, first 2 shown]
	v_fmac_f32_e32 v3, v11, v23
	v_mul_f32_e32 v11, v9, v21
	v_mul_f32_e32 v9, v9, v22
	v_add_f32_e32 v18, v55, v5
	v_add_f32_e32 v23, v0, v2
	v_sub_f32_e32 v20, v0, v2
	s_waitcnt lgkmcnt(1)
	v_fmac_f32_e32 v11, v38, v22
	v_fma_f32 v4, v38, v21, -v9
	v_sub_f32_e32 v9, v7, v1
	v_sub_f32_e32 v21, v25, v0
	s_waitcnt vmcnt(0)
	v_mul_f32_e32 v37, v10, v56
	v_mul_f32_e32 v10, v10, v57
	v_fma_f32 v18, -0.5, v18, v11
	v_add_f32_e32 v6, v6, v9
	v_fma_f32 v23, -0.5, v23, v4
	v_fmac_f32_e32 v37, v12, v57
	v_fma_f32 v10, v12, v56, -v10
	v_sub_f32_e32 v56, v1, v7
	v_add_f32_e32 v12, v27, v1
	v_add_f32_e32 v57, v26, v7
	v_sub_f32_e32 v17, v37, v5
	v_sub_f32_e32 v59, v5, v37
	v_add_f32_e32 v9, v53, v37
	v_sub_f32_e32 v19, v25, v10
	v_sub_f32_e32 v22, v10, v2
	v_add_f32_e32 v15, v15, v17
	v_sub_f32_e32 v17, v0, v25
	v_add_f32_e32 v54, v54, v56
	v_add_f32_e32 v56, v25, v10
	;; [unrolled: 1-line block ×3, first 2 shown]
	v_sub_f32_e32 v38, v53, v37
	v_add_f32_e32 v58, v58, v59
	v_sub_f32_e32 v59, v3, v52
	v_add_f32_e32 v53, v53, v11
	v_fma_f32 v9, -0.5, v9, v11
	v_sub_f32_e32 v11, v16, v28
	v_add_f32_e32 v21, v21, v22
	v_sub_f32_e32 v22, v2, v10
	v_fma_f32 v4, -0.5, v56, v4
	v_sub_f32_e32 v56, v52, v3
	v_add_f32_e32 v0, v0, v25
	v_sub_f32_e32 v25, v28, v16
	v_sub_f32_e32 v39, v55, v5
	s_waitcnt lgkmcnt(0)
	v_fma_f32 v12, -0.5, v12, v24
	v_fma_f32 v57, -0.5, v57, v24
	v_add_f32_e32 v24, v26, v24
	v_sub_f32_e32 v13, v3, v16
	v_add_f32_e32 v11, v59, v11
	v_add_f32_e32 v59, v3, v16
	;; [unrolled: 1-line block ×6, first 2 shown]
	v_fmamk_f32 v56, v38, 0xbf737871, v23
	v_fmac_f32_e32 v23, 0x3f737871, v38
	v_add_f32_e32 v24, v27, v24
	v_fmamk_f32 v60, v39, 0x3f737871, v4
	v_fmac_f32_e32 v4, 0xbf737871, v39
	v_sub_f32_e32 v14, v52, v28
	v_add_f32_e32 v3, v3, v52
	v_add_f32_e32 v52, v55, v53
	v_sub_f32_e32 v26, v26, v7
	v_fma_f32 v22, -0.5, v22, v8
	v_fmamk_f32 v55, v19, 0x3f737871, v18
	v_fmac_f32_e32 v18, 0xbf737871, v19
	v_fmac_f32_e32 v23, 0x3f167918, v39
	v_sub_f32_e32 v27, v27, v1
	v_fma_f32 v8, -0.5, v59, v8
	v_add_f32_e32 v1, v1, v24
	v_fmamk_f32 v24, v20, 0xbf737871, v9
	v_fmac_f32_e32 v9, 0x3f737871, v20
	v_fmac_f32_e32 v4, 0x3f167918, v38
	;; [unrolled: 1-line block ×3, first 2 shown]
	v_add_f32_e32 v0, v2, v0
	v_add_f32_e32 v2, v3, v28
	;; [unrolled: 1-line block ×3, first 2 shown]
	v_fmac_f32_e32 v56, 0xbf167918, v39
	v_fmamk_f32 v53, v13, 0xbf737871, v12
	v_fmac_f32_e32 v12, 0x3f737871, v13
	v_fmamk_f32 v28, v26, 0x3f737871, v22
	v_fmac_f32_e32 v22, 0xbf737871, v26
	v_fmac_f32_e32 v18, 0xbf167918, v20
	v_fmac_f32_e32 v23, 0x3e9e377a, v21
	v_fmamk_f32 v59, v14, 0x3f737871, v57
	v_fmac_f32_e32 v57, 0xbf737871, v14
	v_fmamk_f32 v52, v27, 0xbf737871, v8
	v_fmac_f32_e32 v8, 0x3f737871, v27
	v_fmac_f32_e32 v9, 0xbf167918, v19
	;; [unrolled: 1-line block ×6, first 2 shown]
	v_add_f32_e32 v5, v7, v1
	v_add_f32_e32 v7, v10, v0
	;; [unrolled: 1-line block ×4, first 2 shown]
	v_fmac_f32_e32 v56, 0x3e9e377a, v21
	v_fmac_f32_e32 v12, 0x3f167918, v14
	;; [unrolled: 1-line block ×4, first 2 shown]
	v_mul_f32_e32 v16, 0x3f4f1bbd, v23
	v_mul_f32_e32 v23, 0xbf167918, v23
	v_fmac_f32_e32 v53, 0xbf167918, v14
	v_fmac_f32_e32 v57, 0x3f167918, v13
	;; [unrolled: 1-line block ×4, first 2 shown]
	v_mul_f32_e32 v14, 0x3e9e377a, v4
	v_mul_f32_e32 v21, 0xbf737871, v4
	v_fmac_f32_e32 v59, 0xbf167918, v13
	v_fmac_f32_e32 v52, 0x3f167918, v26
	;; [unrolled: 1-line block ×3, first 2 shown]
	v_mul_f32_e32 v13, 0xbe9e377a, v60
	v_mul_f32_e32 v20, 0xbf737871, v60
	v_fmac_f32_e32 v28, 0x3f167918, v27
	v_fmac_f32_e32 v55, 0x3e9e377a, v15
	v_sub_f32_e32 v0, v2, v10
	v_add_f32_e32 v2, v2, v10
	v_mul_f32_e32 v10, 0xbf4f1bbd, v56
	v_mul_f32_e32 v19, 0xbf167918, v56
	v_fmac_f32_e32 v12, 0x3e9e377a, v6
	v_fmac_f32_e32 v22, 0x3e9e377a, v11
	;; [unrolled: 1-line block ×14, first 2 shown]
	v_add_f32_e32 v3, v5, v7
	v_fmac_f32_e32 v10, 0x3f167918, v55
	v_fmac_f32_e32 v19, 0xbf4f1bbd, v55
	v_sub_f32_e32 v9, v12, v16
	v_add_f32_e32 v17, v12, v16
	v_add_f32_e32 v16, v22, v23
	v_sub_f32_e32 v1, v5, v7
	v_sub_f32_e32 v7, v57, v14
	v_add_f32_e32 v15, v57, v14
	v_add_f32_e32 v14, v8, v21
	v_sub_f32_e32 v5, v59, v13
	v_add_f32_e32 v13, v59, v13
	v_add_f32_e32 v12, v52, v20
	global_store_dwordx2 v[29:30], v[2:3], off
	v_sub_f32_e32 v3, v53, v10
	v_add_f32_e32 v11, v53, v10
	v_add_f32_e32 v10, v28, v19
	v_sub_f32_e32 v2, v28, v19
	v_sub_f32_e32 v4, v52, v20
	;; [unrolled: 1-line block ×4, first 2 shown]
	global_store_dwordx2 v[31:32], v[16:17], off
	global_store_dwordx2 v[33:34], v[14:15], off
	;; [unrolled: 1-line block ×9, first 2 shown]
.LBB0_28:
	s_endpgm
	.section	.rodata,"a",@progbits
	.p2align	6, 0x0
	.amdhsa_kernel fft_rtc_back_len90_factors_3_3_10_wgs_63_tpt_9_halfLds_sp_ip_CI_sbrr_dirReg
		.amdhsa_group_segment_fixed_size 0
		.amdhsa_private_segment_fixed_size 0
		.amdhsa_kernarg_size 88
		.amdhsa_user_sgpr_count 6
		.amdhsa_user_sgpr_private_segment_buffer 1
		.amdhsa_user_sgpr_dispatch_ptr 0
		.amdhsa_user_sgpr_queue_ptr 0
		.amdhsa_user_sgpr_kernarg_segment_ptr 1
		.amdhsa_user_sgpr_dispatch_id 0
		.amdhsa_user_sgpr_flat_scratch_init 0
		.amdhsa_user_sgpr_private_segment_size 0
		.amdhsa_wavefront_size32 1
		.amdhsa_uses_dynamic_stack 0
		.amdhsa_system_sgpr_private_segment_wavefront_offset 0
		.amdhsa_system_sgpr_workgroup_id_x 1
		.amdhsa_system_sgpr_workgroup_id_y 0
		.amdhsa_system_sgpr_workgroup_id_z 0
		.amdhsa_system_sgpr_workgroup_info 0
		.amdhsa_system_vgpr_workitem_id 0
		.amdhsa_next_free_vgpr 63
		.amdhsa_next_free_sgpr 23
		.amdhsa_reserve_vcc 1
		.amdhsa_reserve_flat_scratch 0
		.amdhsa_float_round_mode_32 0
		.amdhsa_float_round_mode_16_64 0
		.amdhsa_float_denorm_mode_32 3
		.amdhsa_float_denorm_mode_16_64 3
		.amdhsa_dx10_clamp 1
		.amdhsa_ieee_mode 1
		.amdhsa_fp16_overflow 0
		.amdhsa_workgroup_processor_mode 1
		.amdhsa_memory_ordered 1
		.amdhsa_forward_progress 0
		.amdhsa_shared_vgpr_count 0
		.amdhsa_exception_fp_ieee_invalid_op 0
		.amdhsa_exception_fp_denorm_src 0
		.amdhsa_exception_fp_ieee_div_zero 0
		.amdhsa_exception_fp_ieee_overflow 0
		.amdhsa_exception_fp_ieee_underflow 0
		.amdhsa_exception_fp_ieee_inexact 0
		.amdhsa_exception_int_div_zero 0
	.end_amdhsa_kernel
	.text
.Lfunc_end0:
	.size	fft_rtc_back_len90_factors_3_3_10_wgs_63_tpt_9_halfLds_sp_ip_CI_sbrr_dirReg, .Lfunc_end0-fft_rtc_back_len90_factors_3_3_10_wgs_63_tpt_9_halfLds_sp_ip_CI_sbrr_dirReg
                                        ; -- End function
	.section	.AMDGPU.csdata,"",@progbits
; Kernel info:
; codeLenInByte = 5680
; NumSgprs: 25
; NumVgprs: 63
; ScratchSize: 0
; MemoryBound: 0
; FloatMode: 240
; IeeeMode: 1
; LDSByteSize: 0 bytes/workgroup (compile time only)
; SGPRBlocks: 3
; VGPRBlocks: 7
; NumSGPRsForWavesPerEU: 25
; NumVGPRsForWavesPerEU: 63
; Occupancy: 16
; WaveLimiterHint : 1
; COMPUTE_PGM_RSRC2:SCRATCH_EN: 0
; COMPUTE_PGM_RSRC2:USER_SGPR: 6
; COMPUTE_PGM_RSRC2:TRAP_HANDLER: 0
; COMPUTE_PGM_RSRC2:TGID_X_EN: 1
; COMPUTE_PGM_RSRC2:TGID_Y_EN: 0
; COMPUTE_PGM_RSRC2:TGID_Z_EN: 0
; COMPUTE_PGM_RSRC2:TIDIG_COMP_CNT: 0
	.text
	.p2alignl 6, 3214868480
	.fill 48, 4, 3214868480
	.type	__hip_cuid_140e2d4dec15fc04,@object ; @__hip_cuid_140e2d4dec15fc04
	.section	.bss,"aw",@nobits
	.globl	__hip_cuid_140e2d4dec15fc04
__hip_cuid_140e2d4dec15fc04:
	.byte	0                               ; 0x0
	.size	__hip_cuid_140e2d4dec15fc04, 1

	.ident	"AMD clang version 19.0.0git (https://github.com/RadeonOpenCompute/llvm-project roc-6.4.0 25133 c7fe45cf4b819c5991fe208aaa96edf142730f1d)"
	.section	".note.GNU-stack","",@progbits
	.addrsig
	.addrsig_sym __hip_cuid_140e2d4dec15fc04
	.amdgpu_metadata
---
amdhsa.kernels:
  - .args:
      - .actual_access:  read_only
        .address_space:  global
        .offset:         0
        .size:           8
        .value_kind:     global_buffer
      - .offset:         8
        .size:           8
        .value_kind:     by_value
      - .actual_access:  read_only
        .address_space:  global
        .offset:         16
        .size:           8
        .value_kind:     global_buffer
      - .actual_access:  read_only
        .address_space:  global
        .offset:         24
        .size:           8
        .value_kind:     global_buffer
      - .offset:         32
        .size:           8
        .value_kind:     by_value
      - .actual_access:  read_only
        .address_space:  global
        .offset:         40
        .size:           8
        .value_kind:     global_buffer
      - .actual_access:  read_only
        .address_space:  global
        .offset:         48
        .size:           8
        .value_kind:     global_buffer
      - .offset:         56
        .size:           4
        .value_kind:     by_value
      - .actual_access:  read_only
        .address_space:  global
        .offset:         64
        .size:           8
        .value_kind:     global_buffer
      - .actual_access:  read_only
        .address_space:  global
        .offset:         72
        .size:           8
        .value_kind:     global_buffer
      - .address_space:  global
        .offset:         80
        .size:           8
        .value_kind:     global_buffer
    .group_segment_fixed_size: 0
    .kernarg_segment_align: 8
    .kernarg_segment_size: 88
    .language:       OpenCL C
    .language_version:
      - 2
      - 0
    .max_flat_workgroup_size: 63
    .name:           fft_rtc_back_len90_factors_3_3_10_wgs_63_tpt_9_halfLds_sp_ip_CI_sbrr_dirReg
    .private_segment_fixed_size: 0
    .sgpr_count:     25
    .sgpr_spill_count: 0
    .symbol:         fft_rtc_back_len90_factors_3_3_10_wgs_63_tpt_9_halfLds_sp_ip_CI_sbrr_dirReg.kd
    .uniform_work_group_size: 1
    .uses_dynamic_stack: false
    .vgpr_count:     63
    .vgpr_spill_count: 0
    .wavefront_size: 32
    .workgroup_processor_mode: 1
amdhsa.target:   amdgcn-amd-amdhsa--gfx1030
amdhsa.version:
  - 1
  - 2
...

	.end_amdgpu_metadata
